;; amdgpu-corpus repo=ROCm/rocFFT kind=compiled arch=gfx906 opt=O3
	.text
	.amdgcn_target "amdgcn-amd-amdhsa--gfx906"
	.amdhsa_code_object_version 6
	.protected	fft_rtc_fwd_len176_factors_11_16_wgs_64_tpt_16_halfLds_sp_op_CI_CI_sbrr_dirReg ; -- Begin function fft_rtc_fwd_len176_factors_11_16_wgs_64_tpt_16_halfLds_sp_op_CI_CI_sbrr_dirReg
	.globl	fft_rtc_fwd_len176_factors_11_16_wgs_64_tpt_16_halfLds_sp_op_CI_CI_sbrr_dirReg
	.p2align	8
	.type	fft_rtc_fwd_len176_factors_11_16_wgs_64_tpt_16_halfLds_sp_op_CI_CI_sbrr_dirReg,@function
fft_rtc_fwd_len176_factors_11_16_wgs_64_tpt_16_halfLds_sp_op_CI_CI_sbrr_dirReg: ; @fft_rtc_fwd_len176_factors_11_16_wgs_64_tpt_16_halfLds_sp_op_CI_CI_sbrr_dirReg
; %bb.0:
	s_load_dwordx4 s[16:19], s[4:5], 0x18
	s_load_dwordx4 s[12:15], s[4:5], 0x0
	;; [unrolled: 1-line block ×3, first 2 shown]
	v_lshrrev_b32_e32 v25, 4, v0
	v_mov_b32_e32 v7, 0
	s_waitcnt lgkmcnt(0)
	s_load_dwordx2 s[22:23], s[16:17], 0x0
	s_load_dwordx2 s[20:21], s[18:19], 0x0
	v_cmp_lt_u64_e64 s[0:1], s[14:15], 2
	v_mov_b32_e32 v5, 0
	v_lshl_or_b32 v9, s6, 2, v25
	v_mov_b32_e32 v10, v7
	s_and_b64 vcc, exec, s[0:1]
	v_mov_b32_e32 v6, 0
	s_cbranch_vccnz .LBB0_8
; %bb.1:
	s_load_dwordx2 s[0:1], s[4:5], 0x10
	s_add_u32 s2, s18, 8
	s_addc_u32 s3, s19, 0
	s_add_u32 s6, s16, 8
	s_addc_u32 s7, s17, 0
	v_mov_b32_e32 v5, 0
	s_waitcnt lgkmcnt(0)
	s_add_u32 s24, s0, 8
	v_mov_b32_e32 v6, 0
	v_mov_b32_e32 v1, v5
	s_addc_u32 s25, s1, 0
	s_mov_b64 s[26:27], 1
	v_mov_b32_e32 v2, v6
.LBB0_2:                                ; =>This Inner Loop Header: Depth=1
	s_load_dwordx2 s[28:29], s[24:25], 0x0
                                        ; implicit-def: $vgpr3_vgpr4
	s_waitcnt lgkmcnt(0)
	v_or_b32_e32 v8, s29, v10
	v_cmp_ne_u64_e32 vcc, 0, v[7:8]
	s_and_saveexec_b64 s[0:1], vcc
	s_xor_b64 s[30:31], exec, s[0:1]
	s_cbranch_execz .LBB0_4
; %bb.3:                                ;   in Loop: Header=BB0_2 Depth=1
	v_cvt_f32_u32_e32 v3, s28
	v_cvt_f32_u32_e32 v4, s29
	s_sub_u32 s0, 0, s28
	s_subb_u32 s1, 0, s29
	v_mac_f32_e32 v3, 0x4f800000, v4
	v_rcp_f32_e32 v3, v3
	v_mul_f32_e32 v3, 0x5f7ffffc, v3
	v_mul_f32_e32 v4, 0x2f800000, v3
	v_trunc_f32_e32 v4, v4
	v_mac_f32_e32 v3, 0xcf800000, v4
	v_cvt_u32_f32_e32 v4, v4
	v_cvt_u32_f32_e32 v3, v3
	v_mul_lo_u32 v8, s0, v4
	v_mul_hi_u32 v11, s0, v3
	v_mul_lo_u32 v13, s1, v3
	v_mul_lo_u32 v12, s0, v3
	v_add_u32_e32 v8, v11, v8
	v_add_u32_e32 v8, v8, v13
	v_mul_hi_u32 v11, v3, v12
	v_mul_lo_u32 v13, v3, v8
	v_mul_hi_u32 v15, v3, v8
	v_mul_hi_u32 v14, v4, v12
	v_mul_lo_u32 v12, v4, v12
	v_mul_hi_u32 v16, v4, v8
	v_add_co_u32_e32 v11, vcc, v11, v13
	v_addc_co_u32_e32 v13, vcc, 0, v15, vcc
	v_mul_lo_u32 v8, v4, v8
	v_add_co_u32_e32 v11, vcc, v11, v12
	v_addc_co_u32_e32 v11, vcc, v13, v14, vcc
	v_addc_co_u32_e32 v12, vcc, 0, v16, vcc
	v_add_co_u32_e32 v8, vcc, v11, v8
	v_addc_co_u32_e32 v11, vcc, 0, v12, vcc
	v_add_co_u32_e32 v3, vcc, v3, v8
	v_addc_co_u32_e32 v4, vcc, v4, v11, vcc
	v_mul_lo_u32 v8, s0, v4
	v_mul_hi_u32 v11, s0, v3
	v_mul_lo_u32 v12, s1, v3
	v_mul_lo_u32 v13, s0, v3
	v_add_u32_e32 v8, v11, v8
	v_add_u32_e32 v8, v8, v12
	v_mul_lo_u32 v14, v3, v8
	v_mul_hi_u32 v15, v3, v13
	v_mul_hi_u32 v16, v3, v8
	;; [unrolled: 1-line block ×3, first 2 shown]
	v_mul_lo_u32 v13, v4, v13
	v_mul_hi_u32 v11, v4, v8
	v_add_co_u32_e32 v14, vcc, v15, v14
	v_addc_co_u32_e32 v15, vcc, 0, v16, vcc
	v_mul_lo_u32 v8, v4, v8
	v_add_co_u32_e32 v13, vcc, v14, v13
	v_addc_co_u32_e32 v12, vcc, v15, v12, vcc
	v_addc_co_u32_e32 v11, vcc, 0, v11, vcc
	v_add_co_u32_e32 v8, vcc, v12, v8
	v_addc_co_u32_e32 v11, vcc, 0, v11, vcc
	v_add_co_u32_e32 v8, vcc, v3, v8
	v_addc_co_u32_e32 v11, vcc, v4, v11, vcc
	v_mad_u64_u32 v[3:4], s[0:1], v9, v11, 0
	v_mul_hi_u32 v12, v9, v8
	v_add_co_u32_e32 v13, vcc, v12, v3
	v_addc_co_u32_e32 v14, vcc, 0, v4, vcc
	v_mad_u64_u32 v[3:4], s[0:1], v10, v8, 0
	v_mad_u64_u32 v[11:12], s[0:1], v10, v11, 0
	v_add_co_u32_e32 v3, vcc, v13, v3
	v_addc_co_u32_e32 v3, vcc, v14, v4, vcc
	v_addc_co_u32_e32 v4, vcc, 0, v12, vcc
	v_add_co_u32_e32 v8, vcc, v3, v11
	v_addc_co_u32_e32 v11, vcc, 0, v4, vcc
	v_mul_lo_u32 v12, s29, v8
	v_mul_lo_u32 v13, s28, v11
	v_mad_u64_u32 v[3:4], s[0:1], s28, v8, 0
	v_add3_u32 v4, v4, v13, v12
	v_sub_u32_e32 v12, v10, v4
	v_mov_b32_e32 v13, s29
	v_sub_co_u32_e32 v3, vcc, v9, v3
	v_subb_co_u32_e64 v12, s[0:1], v12, v13, vcc
	v_subrev_co_u32_e64 v13, s[0:1], s28, v3
	v_subbrev_co_u32_e64 v12, s[0:1], 0, v12, s[0:1]
	v_cmp_le_u32_e64 s[0:1], s29, v12
	v_cndmask_b32_e64 v14, 0, -1, s[0:1]
	v_cmp_le_u32_e64 s[0:1], s28, v13
	v_cndmask_b32_e64 v13, 0, -1, s[0:1]
	v_cmp_eq_u32_e64 s[0:1], s29, v12
	v_cndmask_b32_e64 v12, v14, v13, s[0:1]
	v_add_co_u32_e64 v13, s[0:1], 2, v8
	v_addc_co_u32_e64 v14, s[0:1], 0, v11, s[0:1]
	v_add_co_u32_e64 v15, s[0:1], 1, v8
	v_addc_co_u32_e64 v16, s[0:1], 0, v11, s[0:1]
	v_subb_co_u32_e32 v4, vcc, v10, v4, vcc
	v_cmp_ne_u32_e64 s[0:1], 0, v12
	v_cmp_le_u32_e32 vcc, s29, v4
	v_cndmask_b32_e64 v12, v16, v14, s[0:1]
	v_cndmask_b32_e64 v14, 0, -1, vcc
	v_cmp_le_u32_e32 vcc, s28, v3
	v_cndmask_b32_e64 v3, 0, -1, vcc
	v_cmp_eq_u32_e32 vcc, s29, v4
	v_cndmask_b32_e32 v3, v14, v3, vcc
	v_cmp_ne_u32_e32 vcc, 0, v3
	v_cndmask_b32_e64 v3, v15, v13, s[0:1]
	v_cndmask_b32_e32 v4, v11, v12, vcc
	v_cndmask_b32_e32 v3, v8, v3, vcc
.LBB0_4:                                ;   in Loop: Header=BB0_2 Depth=1
	s_andn2_saveexec_b64 s[0:1], s[30:31]
	s_cbranch_execz .LBB0_6
; %bb.5:                                ;   in Loop: Header=BB0_2 Depth=1
	v_cvt_f32_u32_e32 v3, s28
	s_sub_i32 s30, 0, s28
	v_rcp_iflag_f32_e32 v3, v3
	v_mul_f32_e32 v3, 0x4f7ffffe, v3
	v_cvt_u32_f32_e32 v3, v3
	v_mul_lo_u32 v4, s30, v3
	v_mul_hi_u32 v4, v3, v4
	v_add_u32_e32 v3, v3, v4
	v_mul_hi_u32 v3, v9, v3
	v_mul_lo_u32 v4, v3, s28
	v_add_u32_e32 v8, 1, v3
	v_sub_u32_e32 v4, v9, v4
	v_subrev_u32_e32 v11, s28, v4
	v_cmp_le_u32_e32 vcc, s28, v4
	v_cndmask_b32_e32 v4, v4, v11, vcc
	v_cndmask_b32_e32 v3, v3, v8, vcc
	v_add_u32_e32 v8, 1, v3
	v_cmp_le_u32_e32 vcc, s28, v4
	v_cndmask_b32_e32 v3, v3, v8, vcc
	v_mov_b32_e32 v4, v7
.LBB0_6:                                ;   in Loop: Header=BB0_2 Depth=1
	s_or_b64 exec, exec, s[0:1]
	v_mul_lo_u32 v8, v4, s28
	v_mul_lo_u32 v13, v3, s29
	v_mad_u64_u32 v[11:12], s[0:1], v3, s28, 0
	s_load_dwordx2 s[0:1], s[6:7], 0x0
	s_load_dwordx2 s[28:29], s[2:3], 0x0
	v_add3_u32 v8, v12, v13, v8
	v_sub_co_u32_e32 v9, vcc, v9, v11
	v_subb_co_u32_e32 v8, vcc, v10, v8, vcc
	s_waitcnt lgkmcnt(0)
	v_mul_lo_u32 v10, s0, v8
	v_mul_lo_u32 v11, s1, v9
	v_mad_u64_u32 v[5:6], s[0:1], s0, v9, v[5:6]
	v_mul_lo_u32 v8, s28, v8
	v_mul_lo_u32 v12, s29, v9
	v_mad_u64_u32 v[1:2], s[0:1], s28, v9, v[1:2]
	s_add_u32 s26, s26, 1
	s_addc_u32 s27, s27, 0
	s_add_u32 s2, s2, 8
	v_add3_u32 v2, v12, v2, v8
	s_addc_u32 s3, s3, 0
	v_mov_b32_e32 v8, s14
	s_add_u32 s6, s6, 8
	v_mov_b32_e32 v9, s15
	s_addc_u32 s7, s7, 0
	v_cmp_ge_u64_e32 vcc, s[26:27], v[8:9]
	s_add_u32 s24, s24, 8
	v_add3_u32 v6, v11, v6, v10
	s_addc_u32 s25, s25, 0
	s_cbranch_vccnz .LBB0_9
; %bb.7:                                ;   in Loop: Header=BB0_2 Depth=1
	v_mov_b32_e32 v10, v4
	v_mov_b32_e32 v9, v3
	s_branch .LBB0_2
.LBB0_8:
	v_mov_b32_e32 v1, v5
	v_mov_b32_e32 v3, v9
	;; [unrolled: 1-line block ×4, first 2 shown]
.LBB0_9:
	s_load_dwordx2 s[0:1], s[4:5], 0x28
	s_lshl_b64 s[6:7], s[14:15], 3
	s_add_u32 s2, s18, s6
	s_addc_u32 s3, s19, s7
	v_and_b32_e32 v40, 15, v0
	s_waitcnt lgkmcnt(0)
	v_cmp_gt_u64_e32 vcc, s[0:1], v[3:4]
	v_cmp_le_u64_e64 s[0:1], s[0:1], v[3:4]
                                        ; implicit-def: $sgpr14_sgpr15
	s_and_saveexec_b64 s[4:5], s[0:1]
	s_xor_b64 s[0:1], exec, s[4:5]
; %bb.10:
	v_and_b32_e32 v40, 15, v0
	s_mov_b64 s[14:15], 0
                                        ; implicit-def: $vgpr5_vgpr6
; %bb.11:
	s_or_saveexec_b64 s[4:5], s[0:1]
	v_mov_b32_e32 v27, s15
	v_mov_b32_e32 v26, s14
                                        ; implicit-def: $vgpr33
                                        ; implicit-def: $vgpr29
                                        ; implicit-def: $vgpr22
                                        ; implicit-def: $vgpr16
                                        ; implicit-def: $vgpr10
                                        ; implicit-def: $vgpr12
                                        ; implicit-def: $vgpr18
                                        ; implicit-def: $vgpr24
                                        ; implicit-def: $vgpr31
                                        ; implicit-def: $vgpr37
	s_xor_b64 exec, exec, s[4:5]
	s_cbranch_execz .LBB0_13
; %bb.12:
	s_add_u32 s0, s16, s6
	s_addc_u32 s1, s17, s7
	s_load_dwordx2 s[0:1], s[0:1], 0x0
	v_mad_u64_u32 v[7:8], s[6:7], s22, v40, 0
	v_lshlrev_b64 v[5:6], 3, v[5:6]
	v_or_b32_e32 v15, 48, v40
	s_waitcnt lgkmcnt(0)
	v_mul_lo_u32 v13, s1, v3
	v_mul_lo_u32 v14, s0, v4
	v_mad_u64_u32 v[9:10], s[0:1], s0, v3, 0
	v_mov_b32_e32 v0, v8
	v_mad_u64_u32 v[11:12], s[0:1], s23, v40, v[0:1]
	v_add3_u32 v10, v10, v14, v13
	v_lshlrev_b64 v[9:10], 3, v[9:10]
	v_mov_b32_e32 v8, v11
	v_mov_b32_e32 v0, s9
	v_add_co_u32_e64 v11, s[0:1], s8, v9
	v_or_b32_e32 v12, 16, v40
	v_addc_co_u32_e64 v0, s[0:1], v0, v10, s[0:1]
	v_mad_u64_u32 v[9:10], s[0:1], s22, v12, 0
	v_add_co_u32_e64 v17, s[0:1], v11, v5
	v_addc_co_u32_e64 v18, s[0:1], v0, v6, s[0:1]
	v_mov_b32_e32 v0, v10
	v_or_b32_e32 v13, 32, v40
	v_lshlrev_b64 v[5:6], 3, v[7:8]
	v_mad_u64_u32 v[7:8], s[0:1], s23, v12, v[0:1]
	v_mad_u64_u32 v[11:12], s[0:1], s22, v13, 0
	v_add_co_u32_e64 v5, s[0:1], v17, v5
	v_mov_b32_e32 v10, v7
	v_mov_b32_e32 v0, v12
	v_addc_co_u32_e64 v6, s[0:1], v18, v6, s[0:1]
	v_lshlrev_b64 v[7:8], 3, v[9:10]
	v_mad_u64_u32 v[9:10], s[0:1], s23, v13, v[0:1]
	v_mad_u64_u32 v[13:14], s[0:1], s22, v15, 0
	v_add_co_u32_e64 v7, s[0:1], v17, v7
	v_mov_b32_e32 v12, v9
	v_mov_b32_e32 v0, v14
	v_addc_co_u32_e64 v8, s[0:1], v18, v8, s[0:1]
	v_lshlrev_b64 v[9:10], 3, v[11:12]
	v_mad_u64_u32 v[11:12], s[0:1], s23, v15, v[0:1]
	v_or_b32_e32 v12, 64, v40
	v_mad_u64_u32 v[15:16], s[0:1], s22, v12, 0
	v_add_co_u32_e64 v19, s[0:1], v17, v9
	v_mov_b32_e32 v14, v11
	v_mov_b32_e32 v0, v16
	v_addc_co_u32_e64 v20, s[0:1], v18, v10, s[0:1]
	v_lshlrev_b64 v[9:10], 3, v[13:14]
	v_mad_u64_u32 v[11:12], s[0:1], s23, v12, v[0:1]
	v_or_b32_e32 v14, 0x50, v40
	v_mad_u64_u32 v[12:13], s[0:1], s22, v14, 0
	v_add_co_u32_e64 v34, s[0:1], v17, v9
	v_mov_b32_e32 v0, v13
	v_addc_co_u32_e64 v35, s[0:1], v18, v10, s[0:1]
	v_mov_b32_e32 v16, v11
	v_mad_u64_u32 v[13:14], s[0:1], s23, v14, v[0:1]
	v_or_b32_e32 v11, 0x60, v40
	v_lshlrev_b64 v[9:10], 3, v[15:16]
	v_mad_u64_u32 v[14:15], s[0:1], s22, v11, 0
	v_add_co_u32_e64 v38, s[0:1], v17, v9
	v_mov_b32_e32 v0, v15
	v_addc_co_u32_e64 v39, s[0:1], v18, v10, s[0:1]
	v_lshlrev_b64 v[9:10], 3, v[12:13]
	v_mad_u64_u32 v[11:12], s[0:1], s23, v11, v[0:1]
	v_or_b32_e32 v16, 0x70, v40
	v_mad_u64_u32 v[12:13], s[0:1], s22, v16, 0
	v_add_co_u32_e64 v41, s[0:1], v17, v9
	v_mov_b32_e32 v15, v11
	v_mov_b32_e32 v0, v13
	v_addc_co_u32_e64 v42, s[0:1], v18, v10, s[0:1]
	v_lshlrev_b64 v[9:10], 3, v[14:15]
	v_mad_u64_u32 v[13:14], s[0:1], s23, v16, v[0:1]
	v_or_b32_e32 v11, 0x80, v40
	v_mad_u64_u32 v[14:15], s[0:1], s22, v11, 0
	v_add_co_u32_e64 v43, s[0:1], v17, v9
	v_mov_b32_e32 v0, v15
	v_addc_co_u32_e64 v44, s[0:1], v18, v10, s[0:1]
	v_lshlrev_b64 v[9:10], 3, v[12:13]
	v_mad_u64_u32 v[11:12], s[0:1], s23, v11, v[0:1]
	v_or_b32_e32 v16, 0x90, v40
	v_mad_u64_u32 v[12:13], s[0:1], s22, v16, 0
	v_add_co_u32_e64 v45, s[0:1], v17, v9
	v_mov_b32_e32 v15, v11
	v_mov_b32_e32 v0, v13
	v_addc_co_u32_e64 v46, s[0:1], v18, v10, s[0:1]
	v_lshlrev_b64 v[9:10], 3, v[14:15]
	v_mad_u64_u32 v[13:14], s[0:1], s23, v16, v[0:1]
	v_or_b32_e32 v11, 0xa0, v40
	v_mad_u64_u32 v[14:15], s[0:1], s22, v11, 0
	v_add_co_u32_e64 v47, s[0:1], v17, v9
	v_mov_b32_e32 v0, v15
	v_addc_co_u32_e64 v48, s[0:1], v18, v10, s[0:1]
	v_lshlrev_b64 v[9:10], 3, v[12:13]
	v_mad_u64_u32 v[11:12], s[0:1], s23, v11, v[0:1]
	v_add_co_u32_e64 v49, s[0:1], v17, v9
	v_mov_b32_e32 v15, v11
	v_addc_co_u32_e64 v50, s[0:1], v18, v10, s[0:1]
	v_lshlrev_b64 v[9:10], 3, v[14:15]
	v_add_co_u32_e64 v13, s[0:1], v17, v9
	v_addc_co_u32_e64 v14, s[0:1], v18, v10, s[0:1]
	global_load_dwordx2 v[26:27], v[5:6], off
	global_load_dwordx2 v[32:33], v[7:8], off
	;; [unrolled: 1-line block ×11, first 2 shown]
.LBB0_13:
	s_or_b64 exec, exec, s[4:5]
	s_waitcnt vmcnt(0)
	v_add_f32_e32 v0, v32, v36
	v_mul_f32_e32 v5, 0x3f575c64, v0
	v_add_f32_e32 v35, v28, v30
	v_sub_f32_e32 v34, v33, v37
	v_mov_b32_e32 v6, v5
	v_mul_f32_e32 v13, 0x3ed4b147, v35
	v_fmac_f32_e32 v6, 0x3f0a6770, v34
	v_sub_f32_e32 v38, v29, v31
	v_mov_b32_e32 v7, v13
	v_add_f32_e32 v6, v6, v26
	v_fmac_f32_e32 v7, 0x3f68dda4, v38
	v_mul_f32_e32 v14, 0x3ed4b147, v0
	v_add_f32_e32 v6, v7, v6
	v_mov_b32_e32 v7, v14
	v_mul_f32_e32 v19, 0xbf27a4f4, v35
	v_fmac_f32_e32 v7, 0x3f68dda4, v34
	v_mov_b32_e32 v8, v19
	v_add_f32_e32 v39, v21, v23
	v_add_f32_e32 v7, v7, v26
	v_fmac_f32_e32 v8, 0x3f4178ce, v38
	v_mul_f32_e32 v20, 0xbe11bafb, v39
	v_add_f32_e32 v7, v8, v7
	v_sub_f32_e32 v41, v22, v24
	v_mov_b32_e32 v8, v20
	v_fmac_f32_e32 v8, 0x3f7d64f0, v41
	v_mul_f32_e32 v42, 0xbf75a155, v39
	v_add_f32_e32 v6, v8, v6
	v_mov_b32_e32 v8, v42
	v_add_f32_e32 v43, v15, v17
	v_fmac_f32_e32 v8, 0xbe903f40, v41
	v_mul_f32_e32 v45, 0xbf27a4f4, v43
	v_add_f32_e32 v7, v8, v7
	v_sub_f32_e32 v44, v16, v18
	v_mov_b32_e32 v8, v45
	v_fmac_f32_e32 v8, 0x3f4178ce, v44
	v_mul_f32_e32 v46, 0xbe11bafb, v43
	v_add_f32_e32 v6, v8, v6
	v_mov_b32_e32 v8, v46
	v_add_f32_e32 v47, v9, v11
	v_fmac_f32_e32 v5, 0xbf0a6770, v34
	v_fmac_f32_e32 v8, 0xbf7d64f0, v44
	v_mul_f32_e32 v49, 0xbf75a155, v47
	v_add_f32_e32 v5, v5, v26
	v_fmac_f32_e32 v13, 0xbf68dda4, v38
	v_fmac_f32_e32 v14, 0xbf68dda4, v34
	v_add_f32_e32 v8, v8, v7
	v_sub_f32_e32 v48, v10, v12
	v_mov_b32_e32 v7, v49
	v_add_f32_e32 v5, v13, v5
	v_add_f32_e32 v13, v14, v26
	v_fmac_f32_e32 v19, 0xbf4178ce, v38
	v_fmac_f32_e32 v20, 0xbf7d64f0, v41
	;; [unrolled: 1-line block ×3, first 2 shown]
	v_add_f32_e32 v13, v19, v13
	v_add_f32_e32 v5, v20, v5
	v_fmac_f32_e32 v42, 0x3e903f40, v41
	v_fmac_f32_e32 v45, 0xbf4178ce, v44
	v_add_f32_e32 v7, v7, v6
	v_mul_f32_e32 v6, 0x3f575c64, v47
	v_add_f32_e32 v13, v42, v13
	v_add_f32_e32 v5, v45, v5
	v_fmac_f32_e32 v46, 0x3f7d64f0, v44
	v_fmac_f32_e32 v49, 0xbe903f40, v48
	v_mul_f32_e32 v19, 0xbe11bafb, v0
	v_mov_b32_e32 v50, v6
	v_add_f32_e32 v13, v46, v13
	v_add_f32_e32 v14, v49, v5
	v_fmac_f32_e32 v6, 0x3f0a6770, v48
	v_mov_b32_e32 v5, v19
	v_mul_f32_e32 v20, 0xbf75a155, v35
	v_add_f32_e32 v13, v6, v13
	v_fmac_f32_e32 v5, 0x3f7d64f0, v34
	v_mov_b32_e32 v6, v20
	v_add_f32_e32 v5, v5, v26
	v_fmac_f32_e32 v6, 0xbe903f40, v38
	v_mul_f32_e32 v42, 0xbf27a4f4, v0
	v_add_f32_e32 v5, v6, v5
	v_mov_b32_e32 v6, v42
	v_mul_f32_e32 v45, 0xbe11bafb, v35
	v_fmac_f32_e32 v6, 0x3f4178ce, v34
	v_mov_b32_e32 v46, v45
	v_add_f32_e32 v6, v6, v26
	v_fmac_f32_e32 v46, 0xbf7d64f0, v38
	v_add_f32_e32 v6, v46, v6
	v_mul_f32_e32 v46, 0x3ed4b147, v39
	v_mov_b32_e32 v49, v46
	v_fmac_f32_e32 v49, 0xbf68dda4, v41
	v_fmac_f32_e32 v50, 0xbf0a6770, v48
	v_add_f32_e32 v5, v49, v5
	v_mul_f32_e32 v49, 0x3f575c64, v39
	v_add_f32_e32 v8, v50, v8
	v_mov_b32_e32 v50, v49
	v_fmac_f32_e32 v50, 0x3f0a6770, v41
	v_add_f32_e32 v6, v50, v6
	v_mul_f32_e32 v50, 0x3f575c64, v43
	v_mov_b32_e32 v51, v50
	v_fmac_f32_e32 v51, 0x3f0a6770, v44
	v_add_f32_e32 v5, v51, v5
	v_mul_f32_e32 v51, 0xbf75a155, v43
	v_mov_b32_e32 v52, v51
	v_fmac_f32_e32 v52, 0x3e903f40, v44
	v_fmac_f32_e32 v19, 0xbf7d64f0, v34
	v_add_f32_e32 v6, v52, v6
	v_mul_f32_e32 v52, 0xbf27a4f4, v47
	v_add_f32_e32 v19, v19, v26
	v_fmac_f32_e32 v20, 0x3e903f40, v38
	v_fmac_f32_e32 v42, 0xbf4178ce, v34
	v_mov_b32_e32 v53, v52
	v_add_f32_e32 v19, v20, v19
	v_add_f32_e32 v20, v42, v26
	v_fmac_f32_e32 v45, 0x3f7d64f0, v38
	v_fmac_f32_e32 v53, 0x3f4178ce, v48
	v_add_f32_e32 v20, v45, v20
	v_fmac_f32_e32 v46, 0x3f68dda4, v41
	v_fmac_f32_e32 v49, 0xbf0a6770, v41
	v_add_f32_e32 v5, v53, v5
	v_mul_f32_e32 v53, 0x3ed4b147, v47
	v_add_f32_e32 v19, v46, v19
	v_add_f32_e32 v20, v49, v20
	v_fmac_f32_e32 v50, 0xbf0a6770, v44
	v_fmac_f32_e32 v51, 0xbe903f40, v44
	v_mov_b32_e32 v54, v53
	v_add_f32_e32 v19, v50, v19
	v_add_f32_e32 v42, v51, v20
	v_fmac_f32_e32 v52, 0xbf4178ce, v48
	v_fmac_f32_e32 v53, 0x3f68dda4, v48
	v_mul_f32_e32 v0, 0xbf75a155, v0
	v_add_f32_e32 v20, v52, v19
	v_add_f32_e32 v19, v53, v42
	v_mov_b32_e32 v42, v0
	v_fmac_f32_e32 v42, 0x3e903f40, v34
	v_fmac_f32_e32 v0, 0xbe903f40, v34
	v_mul_f32_e32 v35, 0x3f575c64, v35
	v_add_f32_e32 v34, v42, v26
	v_mov_b32_e32 v42, v35
	v_fmac_f32_e32 v35, 0x3f0a6770, v38
	v_add_f32_e32 v0, v0, v26
	v_add_f32_e32 v0, v35, v0
	v_mul_f32_e32 v35, 0xbf27a4f4, v39
	v_fmac_f32_e32 v42, 0xbf0a6770, v38
	v_mov_b32_e32 v38, v35
	v_fmac_f32_e32 v35, 0xbf4178ce, v41
	v_add_f32_e32 v34, v42, v34
	v_fmac_f32_e32 v38, 0x3f4178ce, v41
	v_add_f32_e32 v0, v35, v0
	v_mul_f32_e32 v35, 0x3ed4b147, v43
	v_add_f32_e32 v34, v38, v34
	v_mov_b32_e32 v38, v35
	v_fmac_f32_e32 v35, 0x3f68dda4, v44
	v_fmac_f32_e32 v38, 0xbf68dda4, v44
	v_add_f32_e32 v0, v35, v0
	v_mul_f32_e32 v35, 0xbe11bafb, v47
	v_add_f32_e32 v34, v38, v34
	v_mov_b32_e32 v38, v35
	v_fmac_f32_e32 v35, 0xbf7d64f0, v48
	v_add_f32_e32 v35, v35, v0
	v_add_f32_e32 v0, v32, v26
	;; [unrolled: 1-line block ×6, first 2 shown]
	s_load_dwordx2 s[4:5], s[2:3], 0x0
	v_add_f32_e32 v0, v11, v0
	v_add_f32_e32 v0, v17, v0
	;; [unrolled: 1-line block ×3, first 2 shown]
	v_fmac_f32_e32 v54, 0xbf68dda4, v48
	v_fmac_f32_e32 v38, 0x3f7d64f0, v48
	v_mul_u32_u24_e32 v25, 0xb0, v25
	v_add_f32_e32 v0, v30, v0
	v_mad_u32_u24 v26, v40, 44, 0
	v_add_f32_e32 v6, v54, v6
	v_add_f32_e32 v34, v38, v34
	;; [unrolled: 1-line block ×3, first 2 shown]
	s_mov_b32 s9, 0x3f575c64
	s_mov_b32 s7, 0x3ed4b147
	;; [unrolled: 1-line block ×5, first 2 shown]
	v_lshl_add_u32 v45, v25, 2, v26
	v_cmp_gt_u32_e64 s[0:1], 11, v40
	v_lshlrev_b32_e32 v43, 2, v25
	v_lshlrev_b32_e32 v44, 2, v40
	ds_write2_b32 v45, v0, v7 offset1:1
	ds_write2_b32 v45, v8, v5 offset0:2 offset1:3
	ds_write2_b32 v45, v6, v34 offset0:4 offset1:5
	;; [unrolled: 1-line block ×4, first 2 shown]
	ds_write_b32 v45, v14 offset:40
	s_waitcnt lgkmcnt(0)
	; wave barrier
	s_waitcnt lgkmcnt(0)
                                        ; implicit-def: $vgpr41
                                        ; implicit-def: $vgpr25
                                        ; implicit-def: $vgpr38
	s_and_saveexec_b64 s[2:3], s[0:1]
	s_cbranch_execz .LBB0_15
; %bb.14:
	v_mul_i32_i24_e32 v5, 0xffffffd8, v40
	v_add3_u32 v0, 0, v43, v44
	v_add3_u32 v41, v26, v5, v43
	ds_read2_b32 v[7:8], v41 offset0:11 offset1:22
	ds_read2_b32 v[5:6], v41 offset0:33 offset1:44
	;; [unrolled: 1-line block ×7, first 2 shown]
	ds_read_b32 v0, v0
	ds_read_b32 v41, v41 offset:660
.LBB0_15:
	s_or_b64 exec, exec, s[2:3]
	v_add_f32_e32 v42, v33, v27
	v_add_f32_e32 v42, v29, v42
	;; [unrolled: 1-line block ×8, first 2 shown]
	v_sub_f32_e32 v32, v32, v36
	v_add_f32_e32 v42, v31, v42
	v_mul_f32_e32 v36, 0xbf0a6770, v32
	v_mul_f32_e32 v46, 0xbf68dda4, v32
	;; [unrolled: 1-line block ×5, first 2 shown]
	v_add_f32_e32 v42, v37, v42
	v_add_f32_e32 v33, v33, v37
	v_mov_b32_e32 v37, v36
	v_mov_b32_e32 v47, v46
	;; [unrolled: 1-line block ×5, first 2 shown]
	v_sub_f32_e32 v28, v28, v30
	v_fmac_f32_e32 v37, 0x3f575c64, v33
	v_fma_f32 v36, v33, s9, -v36
	v_fmac_f32_e32 v47, 0x3ed4b147, v33
	v_fma_f32 v46, v33, s7, -v46
	v_fmac_f32_e32 v49, 0xbe11bafb, v33
	v_fma_f32 v48, v33, s6, -v48
	v_fmac_f32_e32 v51, 0xbf27a4f4, v33
	v_fma_f32 v50, v33, s8, -v50
	v_fmac_f32_e32 v52, 0xbf75a155, v33
	v_fma_f32 v32, v33, s14, -v32
	v_add_f32_e32 v29, v29, v31
	v_mul_f32_e32 v30, 0xbf68dda4, v28
	v_add_f32_e32 v37, v37, v27
	v_add_f32_e32 v36, v36, v27
	v_add_f32_e32 v47, v47, v27
	v_add_f32_e32 v46, v46, v27
	v_add_f32_e32 v49, v49, v27
	v_add_f32_e32 v48, v48, v27
	v_add_f32_e32 v51, v51, v27
	v_add_f32_e32 v50, v50, v27
	v_add_f32_e32 v52, v52, v27
	v_add_f32_e32 v27, v32, v27
	v_mov_b32_e32 v31, v30
	v_fma_f32 v30, v29, s7, -v30
	v_mul_f32_e32 v32, 0xbf4178ce, v28
	v_fmac_f32_e32 v31, 0x3ed4b147, v29
	v_add_f32_e32 v30, v30, v36
	v_mov_b32_e32 v33, v32
	v_fma_f32 v32, v29, s8, -v32
	v_mul_f32_e32 v36, 0x3e903f40, v28
	v_add_f32_e32 v31, v31, v37
	v_add_f32_e32 v32, v32, v46
	v_mov_b32_e32 v37, v36
	v_fma_f32 v36, v29, s14, -v36
	v_mul_f32_e32 v46, 0x3f7d64f0, v28
	v_mul_f32_e32 v28, 0x3f0a6770, v28
	v_sub_f32_e32 v21, v21, v23
	v_fmac_f32_e32 v33, 0xbf27a4f4, v29
	v_add_f32_e32 v36, v36, v48
	v_mov_b32_e32 v48, v28
	v_fma_f32 v28, v29, s9, -v28
	v_add_f32_e32 v22, v22, v24
	v_mul_f32_e32 v23, 0xbf7d64f0, v21
	v_add_f32_e32 v33, v33, v47
	v_mov_b32_e32 v47, v46
	v_add_f32_e32 v27, v28, v27
	v_mov_b32_e32 v24, v23
	v_fma_f32 v23, v22, s6, -v23
	v_mul_f32_e32 v28, 0x3e903f40, v21
	v_fmac_f32_e32 v37, 0xbf75a155, v29
	v_fmac_f32_e32 v47, 0xbe11bafb, v29
	v_fma_f32 v46, v29, s6, -v46
	v_fmac_f32_e32 v48, 0x3f575c64, v29
	v_fmac_f32_e32 v24, 0xbe11bafb, v22
	v_add_f32_e32 v23, v23, v30
	v_mov_b32_e32 v29, v28
	v_fma_f32 v28, v22, s14, -v28
	v_mul_f32_e32 v30, 0x3f68dda4, v21
	v_add_f32_e32 v24, v24, v31
	v_fmac_f32_e32 v29, 0xbf75a155, v22
	v_add_f32_e32 v28, v28, v32
	v_mov_b32_e32 v31, v30
	v_fma_f32 v30, v22, s7, -v30
	v_mul_f32_e32 v32, 0xbf0a6770, v21
	v_mul_f32_e32 v21, 0xbf4178ce, v21
	v_sub_f32_e32 v15, v15, v17
	v_add_f32_e32 v29, v29, v33
	v_add_f32_e32 v30, v30, v36
	v_mov_b32_e32 v33, v32
	v_mov_b32_e32 v36, v21
	v_add_f32_e32 v16, v16, v18
	v_mul_f32_e32 v17, 0xbf4178ce, v15
	v_fmac_f32_e32 v31, 0x3ed4b147, v22
	v_fmac_f32_e32 v33, 0x3f575c64, v22
	v_fma_f32 v32, v22, s9, -v32
	v_fmac_f32_e32 v36, 0xbf27a4f4, v22
	v_fma_f32 v21, v22, s8, -v21
	v_mov_b32_e32 v18, v17
	v_fma_f32 v17, v16, s8, -v17
	v_mul_f32_e32 v22, 0x3f7d64f0, v15
	v_fmac_f32_e32 v18, 0xbf27a4f4, v16
	v_add_f32_e32 v17, v17, v23
	v_mov_b32_e32 v23, v22
	v_fma_f32 v22, v16, s6, -v22
	v_add_f32_e32 v18, v18, v24
	v_add_f32_e32 v24, v22, v28
	v_mul_f32_e32 v22, 0xbf0a6770, v15
	v_add_f32_e32 v21, v21, v27
	v_mov_b32_e32 v27, v22
	v_fma_f32 v22, v16, s9, -v22
	v_sub_f32_e32 v11, v9, v11
	v_add_f32_e32 v46, v46, v50
	v_fmac_f32_e32 v23, 0xbe11bafb, v16
	v_add_f32_e32 v28, v22, v30
	v_mul_f32_e32 v22, 0xbe903f40, v15
	v_mul_f32_e32 v9, 0xbe903f40, v11
	v_add_f32_e32 v32, v32, v46
	v_add_f32_e32 v23, v23, v29
	v_mov_b32_e32 v29, v22
	v_fma_f32 v22, v16, s14, -v22
	v_mul_f32_e32 v15, 0x3f68dda4, v15
	v_add_f32_e32 v12, v10, v12
	v_mov_b32_e32 v10, v9
	v_add_f32_e32 v30, v22, v32
	v_mov_b32_e32 v22, v15
	v_fma_f32 v15, v16, s7, -v15
	v_fmac_f32_e32 v10, 0xbf75a155, v12
	v_fma_f32 v9, v12, s14, -v9
	v_add_f32_e32 v32, v15, v21
	v_add_f32_e32 v21, v10, v18
	;; [unrolled: 1-line block ×3, first 2 shown]
	v_mul_f32_e32 v9, 0x3f0a6770, v11
	v_add_f32_e32 v37, v37, v49
	v_add_f32_e32 v48, v48, v52
	v_mov_b32_e32 v10, v9
	v_add_f32_e32 v31, v31, v37
	v_add_f32_e32 v36, v36, v48
	v_fmac_f32_e32 v27, 0x3f575c64, v16
	v_fmac_f32_e32 v22, 0x3ed4b147, v16
	;; [unrolled: 1-line block ×3, first 2 shown]
	v_add_f32_e32 v27, v27, v31
	v_add_f32_e32 v31, v22, v36
	v_add_f32_e32 v22, v10, v23
	v_fma_f32 v9, v12, s9, -v9
	v_mul_f32_e32 v10, 0xbf4178ce, v11
	v_add_f32_e32 v47, v47, v51
	v_add_f32_e32 v17, v9, v24
	v_mov_b32_e32 v9, v10
	v_fma_f32 v10, v12, s8, -v10
	v_mul_f32_e32 v15, 0x3f68dda4, v11
	v_mul_f32_e32 v11, 0xbf7d64f0, v11
	v_add_f32_e32 v33, v33, v47
	v_fmac_f32_e32 v29, 0xbf75a155, v16
	v_add_f32_e32 v16, v10, v28
	v_mov_b32_e32 v10, v15
	v_mov_b32_e32 v23, v11
	v_add_f32_e32 v29, v29, v33
	v_fmac_f32_e32 v9, 0xbf27a4f4, v12
	v_fmac_f32_e32 v10, 0x3ed4b147, v12
	v_fma_f32 v15, v12, s7, -v15
	v_fmac_f32_e32 v23, 0xbe11bafb, v12
	v_fma_f32 v11, v12, s6, -v11
	v_add_f32_e32 v9, v9, v27
	v_add_f32_e32 v10, v10, v29
	;; [unrolled: 1-line block ×5, first 2 shown]
	s_waitcnt lgkmcnt(0)
	; wave barrier
	s_waitcnt lgkmcnt(0)
	ds_write2_b32 v45, v42, v21 offset1:1
	ds_write2_b32 v45, v22, v9 offset0:2 offset1:3
	ds_write2_b32 v45, v10, v23 offset0:4 offset1:5
	;; [unrolled: 1-line block ×4, first 2 shown]
	ds_write_b32 v45, v18 offset:40
	s_waitcnt lgkmcnt(0)
	; wave barrier
	s_waitcnt lgkmcnt(0)
                                        ; implicit-def: $vgpr11
                                        ; implicit-def: $vgpr27
                                        ; implicit-def: $vgpr29
	s_and_saveexec_b64 s[2:3], s[0:1]
	s_cbranch_execz .LBB0_17
; %bb.16:
	v_add3_u32 v29, 0, v43, v44
	v_add3_u32 v30, 0, v44, v43
	ds_read2_b32 v[21:22], v30 offset0:11 offset1:22
	ds_read2_b32 v[9:10], v30 offset0:33 offset1:44
	;; [unrolled: 1-line block ×7, first 2 shown]
	ds_read_b32 v42, v29
	ds_read_b32 v29, v30 offset:660
.LBB0_17:
	s_or_b64 exec, exec, s[2:3]
	v_cmp_gt_u32_e64 s[2:3], 11, v40
	s_and_b64 s[2:3], vcc, s[2:3]
	s_and_saveexec_b64 s[6:7], s[2:3]
	s_cbranch_execz .LBB0_19
; %bb.18:
	v_add_u32_e32 v30, -11, v40
	v_cndmask_b32_e64 v30, v30, v40, s[0:1]
	v_mul_i32_i24_e32 v30, 15, v30
	v_mov_b32_e32 v31, 0
	v_lshlrev_b64 v[30:31], 3, v[30:31]
	v_mov_b32_e32 v32, s13
	v_add_co_u32_e32 v55, vcc, s12, v30
	v_addc_co_u32_e32 v56, vcc, v32, v31, vcc
	global_load_dwordx4 v[30:33], v[55:56], off offset:32
	global_load_dwordx4 v[43:46], v[55:56], off offset:96
	global_load_dwordx4 v[47:50], v[55:56], off
	global_load_dwordx4 v[51:54], v[55:56], off offset:48
	s_waitcnt vmcnt(3) lgkmcnt(6)
	v_mul_f32_e32 v59, v24, v32
	v_mul_f32_e32 v24, v24, v33
	v_mul_f32_e32 v60, v23, v30
	v_mul_f32_e32 v23, v23, v31
	v_fmac_f32_e32 v59, v35, v33
	v_fma_f32 v61, v35, v32, -v24
	v_fmac_f32_e32 v60, v34, v31
	v_fma_f32 v62, v34, v30, -v23
	global_load_dwordx4 v[30:33], v[55:56], off offset:16
	global_load_dwordx2 v[57:58], v[55:56], off offset:112
	s_waitcnt vmcnt(4) lgkmcnt(2)
	v_mul_f32_e32 v63, v28, v45
	v_mul_f32_e32 v23, v28, v46
	;; [unrolled: 1-line block ×4, first 2 shown]
	global_load_dwordx4 v[34:37], v[55:56], off offset:64
	v_fmac_f32_e32 v63, v39, v46
	v_fma_f32 v39, v39, v45, -v23
	v_fmac_f32_e32 v28, v38, v44
	v_fma_f32 v38, v38, v43, -v24
	s_waitcnt vmcnt(4)
	v_mul_f32_e32 v43, v8, v50
	v_mul_f32_e32 v23, v21, v48
	;; [unrolled: 1-line block ×4, first 2 shown]
	v_fma_f32 v45, v7, v47, -v23
	v_fmac_f32_e32 v43, v22, v49
	v_fmac_f32_e32 v44, v21, v47
	global_load_dwordx4 v[21:24], v[55:56], off offset:80
	v_fma_f32 v27, v8, v49, -v27
	v_mul_lo_u32 v7, s5, v3
	v_mul_lo_u32 v8, s4, v4
	v_mad_u64_u32 v[3:4], s[0:1], s4, v3, 0
	v_sub_f32_e32 v39, v61, v39
	v_sub_f32_e32 v28, v60, v28
	v_add3_u32 v4, v4, v8, v7
	v_lshlrev_b64 v[3:4], 3, v[3:4]
	s_waitcnt vmcnt(1)
	v_mul_f32_e32 v7, v18, v37
	v_mul_f32_e32 v47, v17, v35
	;; [unrolled: 1-line block ×3, first 2 shown]
	v_fma_f32 v7, v14, v36, -v7
	v_fma_f32 v14, v13, v34, -v47
	v_mul_f32_e32 v13, v13, v35
	v_mul_f32_e32 v37, v10, v33
	;; [unrolled: 1-line block ×3, first 2 shown]
	v_fmac_f32_e32 v13, v17, v34
	v_mul_f32_e32 v17, v9, v31
	v_mul_f32_e32 v34, v15, v51
	;; [unrolled: 1-line block ×3, first 2 shown]
	s_waitcnt vmcnt(0)
	v_mul_f32_e32 v46, v12, v24
	v_fma_f32 v37, v6, v32, -v37
	v_fma_f32 v46, v26, v23, -v46
	v_fmac_f32_e32 v35, v20, v54
	v_fma_f32 v17, v5, v30, -v17
	v_mul_f32_e32 v31, v5, v31
	v_mul_f32_e32 v5, v25, v22
	v_fmac_f32_e32 v8, v18, v36
	v_mul_f32_e32 v18, v11, v22
	s_waitcnt lgkmcnt(0)
	v_mul_f32_e32 v36, v29, v57
	v_fmac_f32_e32 v34, v19, v52
	v_fma_f32 v15, v19, v51, -v15
	v_sub_f32_e32 v19, v27, v7
	v_sub_f32_e32 v46, v37, v46
	;; [unrolled: 1-line block ×3, first 2 shown]
	v_mul_f32_e32 v7, v29, v58
	v_fmac_f32_e32 v31, v9, v30
	v_fmac_f32_e32 v5, v11, v21
	v_mul_f32_e32 v16, v16, v54
	v_fma_f32 v18, v25, v21, -v18
	v_fmac_f32_e32 v36, v41, v58
	v_sub_f32_e32 v47, v43, v8
	v_sub_f32_e32 v14, v45, v14
	v_add_f32_e32 v50, v46, v35
	v_fma_f32 v7, v41, v57, -v7
	v_sub_f32_e32 v21, v31, v5
	v_sub_f32_e32 v9, v62, v38
	;; [unrolled: 1-line block ×3, first 2 shown]
	v_mul_f32_e32 v11, v6, v33
	v_mul_f32_e32 v5, v26, v24
	v_fma_f32 v16, v20, v53, -v16
	v_sub_f32_e32 v20, v59, v63
	v_sub_f32_e32 v36, v34, v36
	v_add_f32_e32 v49, v47, v39
	v_mov_b32_e32 v53, v50
	v_sub_f32_e32 v29, v15, v7
	v_add_f32_e32 v25, v13, v9
	v_fmac_f32_e32 v11, v10, v32
	v_fmac_f32_e32 v5, v12, v23
	v_fma_f32 v41, v45, 2.0, -v14
	v_fma_f32 v9, v62, 2.0, -v9
	v_sub_f32_e32 v18, v17, v18
	v_sub_f32_e32 v48, v19, v20
	;; [unrolled: 1-line block ×3, first 2 shown]
	v_fmac_f32_e32 v53, 0x3f3504f3, v49
	v_add_f32_e32 v22, v21, v29
	v_mov_b32_e32 v30, v25
	v_sub_f32_e32 v32, v0, v16
	v_sub_f32_e32 v10, v11, v5
	v_fma_f32 v33, v42, 2.0, -v35
	v_sub_f32_e32 v42, v41, v9
	v_fma_f32 v31, v31, 2.0, -v21
	v_fma_f32 v9, v34, 2.0, -v36
	v_sub_f32_e32 v51, v18, v36
	v_mov_b32_e32 v54, v52
	v_fmac_f32_e32 v53, 0x3f3504f3, v48
	v_fmac_f32_e32 v30, 0x3f3504f3, v22
	v_sub_f32_e32 v23, v32, v10
	v_sub_f32_e32 v34, v31, v9
	v_fma_f32 v17, v17, 2.0, -v18
	v_fma_f32 v9, v15, 2.0, -v29
	v_fmac_f32_e32 v54, 0x3f3504f3, v51
	v_fmac_f32_e32 v30, 0x3f3504f3, v51
	v_mov_b32_e32 v26, v23
	v_fma_f32 v24, v27, 2.0, -v19
	v_fma_f32 v12, v61, 2.0, -v39
	;; [unrolled: 1-line block ×3, first 2 shown]
	v_sub_f32_e32 v29, v17, v9
	v_fma_f32 v16, v21, 2.0, -v22
	v_fma_f32 v21, v50, 2.0, -v53
	v_fmac_f32_e32 v54, 0xbf3504f3, v22
	v_fmac_f32_e32 v26, 0x3f3504f3, v48
	v_sub_f32_e32 v27, v24, v12
	v_sub_f32_e32 v38, v33, v10
	v_fma_f32 v15, v19, 2.0, -v48
	v_fma_f32 v48, v14, 2.0, -v52
	;; [unrolled: 1-line block ×7, first 2 shown]
	v_mov_b32_e32 v22, v21
	v_fmac_f32_e32 v26, 0xbf3504f3, v49
	v_add_f32_e32 v39, v27, v38
	v_sub_f32_e32 v58, v41, v17
	v_fma_f32 v17, v24, 2.0, -v27
	v_fma_f32 v27, v52, 2.0, -v54
	v_fmac_f32_e32 v22, 0xbec3ef15, v25
	v_fma_f32 v56, v32, 2.0, -v23
	v_fmac_f32_e32 v22, 0x3f6c835e, v27
	v_fma_f32 v23, v23, 2.0, -v26
	v_mov_b32_e32 v5, v26
	v_fma_f32 v44, v44, 2.0, -v13
	v_fma_f32 v9, v60, 2.0, -v28
	;; [unrolled: 1-line block ×3, first 2 shown]
	v_mov_b32_e32 v21, v23
	v_fmac_f32_e32 v5, 0x3f6c835e, v54
	v_sub_f32_e32 v28, v44, v9
	v_fma_f32 v0, v0, 2.0, -v32
	v_fma_f32 v9, v37, 2.0, -v46
	v_fmac_f32_e32 v21, 0xbec3ef15, v27
	v_fmac_f32_e32 v5, 0xbec3ef15, v30
	v_add_f32_e32 v45, v29, v28
	v_sub_f32_e32 v37, v0, v9
	v_fma_f32 v43, v43, 2.0, -v47
	v_fma_f32 v9, v59, 2.0, -v20
	v_fmac_f32_e32 v21, 0xbf6c835e, v25
	v_fma_f32 v25, v38, 2.0, -v39
	v_fma_f32 v7, v26, 2.0, -v5
	v_sub_f32_e32 v36, v42, v34
	v_sub_f32_e32 v20, v43, v9
	v_fma_f32 v29, v28, 2.0, -v45
	v_mov_b32_e32 v26, v25
	v_mov_b32_e32 v6, v53
	v_sub_f32_e32 v46, v37, v20
	v_fma_f32 v35, v35, 2.0, -v50
	v_fma_f32 v27, v42, 2.0, -v36
	v_fmac_f32_e32 v26, 0xbf3504f3, v29
	v_fmac_f32_e32 v6, 0x3f6c835e, v30
	v_fma_f32 v19, v47, 2.0, -v49
	v_mov_b32_e32 v47, v35
	v_fmac_f32_e32 v26, 0x3f3504f3, v27
	v_fma_f32 v30, v37, 2.0, -v46
	v_fmac_f32_e32 v47, 0xbf3504f3, v19
	v_mov_b32_e32 v55, v51
	v_fma_f32 v44, v44, 2.0, -v28
	v_fma_f32 v28, v25, 2.0, -v26
	v_mov_b32_e32 v25, v30
	v_fmac_f32_e32 v47, 0x3f3504f3, v15
	v_mov_b32_e32 v49, v48
	v_fmac_f32_e32 v55, 0xbf3504f3, v16
	v_fmac_f32_e32 v25, 0xbf3504f3, v27
	;; [unrolled: 1-line block ×4, first 2 shown]
	v_mov_b32_e32 v57, v56
	v_fmac_f32_e32 v25, 0xbf3504f3, v29
	v_fma_f32 v29, v35, 2.0, -v47
	v_mov_b32_e32 v10, v39
	v_fmac_f32_e32 v49, 0xbf3504f3, v16
	v_fmac_f32_e32 v57, 0xbf3504f3, v15
	v_fma_f32 v0, v0, 2.0, -v37
	v_fma_f32 v27, v30, 2.0, -v25
	;; [unrolled: 1-line block ×3, first 2 shown]
	v_mov_b32_e32 v30, v29
	v_fmac_f32_e32 v10, 0x3f3504f3, v45
	v_mov_b32_e32 v9, v46
	v_fmac_f32_e32 v57, 0xbf3504f3, v19
	v_sub_f32_e32 v59, v0, v17
	v_fma_f32 v17, v31, 2.0, -v34
	v_fma_f32 v31, v48, 2.0, -v49
	v_fmac_f32_e32 v30, 0xbf6c835e, v35
	v_fmac_f32_e32 v10, 0x3f3504f3, v36
	;; [unrolled: 1-line block ×4, first 2 shown]
	v_fma_f32 v36, v56, 2.0, -v57
	v_fma_f32 v32, v29, 2.0, -v30
	v_mov_b32_e32 v29, v36
	v_fma_f32 v33, v33, 2.0, -v38
	v_fma_f32 v18, v43, 2.0, -v20
	v_fmac_f32_e32 v29, 0xbf6c835e, v31
	v_sub_f32_e32 v43, v33, v18
	v_sub_f32_e32 v34, v44, v17
	v_fmac_f32_e32 v29, 0xbec3ef15, v35
	v_sub_f32_e32 v17, v59, v34
	v_fma_f32 v31, v36, 2.0, -v29
	v_fma_f32 v35, v33, 2.0, -v43
	;; [unrolled: 1-line block ×3, first 2 shown]
	v_mad_u64_u32 v[33:34], s[0:1], s20, v40, 0
	v_sub_f32_e32 v36, v35, v36
	v_fma_f32 v37, v0, 2.0, -v59
	v_mov_b32_e32 v0, v34
	v_fma_f32 v38, v35, 2.0, -v36
	v_mad_u64_u32 v[34:35], s[0:1], s21, v40, v[0:1]
	v_fma_f32 v0, v41, 2.0, -v58
	v_fma_f32 v12, v39, 2.0, -v10
	v_sub_f32_e32 v35, v37, v0
	v_mov_b32_e32 v0, s11
	v_add_co_u32_e32 v39, vcc, s10, v3
	v_add_u32_e32 v41, 11, v40
	v_addc_co_u32_e32 v4, vcc, v0, v4, vcc
	v_lshlrev_b64 v[0:1], 3, v[1:2]
	v_mad_u64_u32 v[2:3], s[0:1], s20, v41, 0
	v_add_co_u32_e32 v39, vcc, v39, v0
	v_addc_co_u32_e32 v42, vcc, v4, v1, vcc
	v_lshlrev_b64 v[0:1], 3, v[33:34]
	v_mad_u64_u32 v[3:4], s[0:1], s21, v41, v[3:4]
	v_add_co_u32_e32 v0, vcc, v39, v0
	v_fma_f32 v37, v37, 2.0, -v35
	v_addc_co_u32_e32 v1, vcc, v42, v1, vcc
	v_add_u32_e32 v4, 22, v40
	global_store_dwordx2 v[0:1], v[37:38], off
	v_lshlrev_b64 v[0:1], 3, v[2:3]
	v_mad_u64_u32 v[2:3], s[0:1], s20, v4, 0
	v_add_co_u32_e32 v0, vcc, v39, v0
	v_mad_u64_u32 v[3:4], s[0:1], s21, v4, v[3:4]
	v_add_u32_e32 v4, 33, v40
	v_mad_u64_u32 v[33:34], s[0:1], s20, v4, 0
	v_addc_co_u32_e32 v1, vcc, v42, v1, vcc
	global_store_dwordx2 v[0:1], v[31:32], off
	v_lshlrev_b64 v[0:1], 3, v[2:3]
	v_mov_b32_e32 v2, v34
	v_mad_u64_u32 v[2:3], s[0:1], s21, v4, v[2:3]
	v_add_u32_e32 v4, 44, v40
	v_add_co_u32_e32 v0, vcc, v39, v0
	v_mov_b32_e32 v34, v2
	v_mad_u64_u32 v[2:3], s[0:1], s20, v4, 0
	v_addc_co_u32_e32 v1, vcc, v42, v1, vcc
	v_mad_u64_u32 v[3:4], s[0:1], s21, v4, v[3:4]
	v_add_u32_e32 v4, 55, v40
	global_store_dwordx2 v[0:1], v[27:28], off
	v_lshlrev_b64 v[0:1], 3, v[33:34]
	v_mad_u64_u32 v[27:28], s[0:1], s20, v4, 0
	v_add_co_u32_e32 v0, vcc, v39, v0
	v_fma_f32 v23, v23, 2.0, -v21
	v_addc_co_u32_e32 v1, vcc, v42, v1, vcc
	global_store_dwordx2 v[0:1], v[23:24], off
	v_lshlrev_b64 v[0:1], 3, v[2:3]
	v_mov_b32_e32 v2, v28
	v_mad_u64_u32 v[2:3], s[0:1], s21, v4, v[2:3]
	v_add_u32_e32 v4, 0x42, v40
	v_add_f32_e32 v18, v43, v58
	v_mov_b32_e32 v28, v2
	v_mad_u64_u32 v[2:3], s[0:1], s20, v4, 0
	v_add_co_u32_e32 v0, vcc, v39, v0
	v_mad_u64_u32 v[3:4], s[0:1], s21, v4, v[3:4]
	v_fma_f32 v20, v43, 2.0, -v18
	v_fma_f32 v19, v59, 2.0, -v17
	v_addc_co_u32_e32 v1, vcc, v42, v1, vcc
	v_add_u32_e32 v4, 0x4d, v40
	v_mov_b32_e32 v14, v47
	v_mov_b32_e32 v13, v57
	global_store_dwordx2 v[0:1], v[19:20], off
	v_lshlrev_b64 v[0:1], 3, v[27:28]
	v_mad_u64_u32 v[19:20], s[0:1], s20, v4, 0
	v_fmac_f32_e32 v14, 0x3ec3ef15, v55
	v_fmac_f32_e32 v13, 0x3ec3ef15, v49
	v_fmac_f32_e32 v14, 0x3f6c835e, v49
	v_fmac_f32_e32 v13, 0xbf6c835e, v55
	v_add_co_u32_e32 v0, vcc, v39, v0
	v_fma_f32 v16, v47, 2.0, -v14
	v_fma_f32 v15, v57, 2.0, -v13
	v_addc_co_u32_e32 v1, vcc, v42, v1, vcc
	global_store_dwordx2 v[0:1], v[15:16], off
	v_lshlrev_b64 v[0:1], 3, v[2:3]
	v_mov_b32_e32 v2, v20
	v_mad_u64_u32 v[2:3], s[0:1], s21, v4, v[2:3]
	v_add_u32_e32 v4, 0x58, v40
	v_fmac_f32_e32 v9, 0xbf3504f3, v45
	v_mov_b32_e32 v20, v2
	v_mad_u64_u32 v[2:3], s[0:1], s20, v4, 0
	v_add_co_u32_e32 v0, vcc, v39, v0
	v_mad_u64_u32 v[3:4], s[0:1], s21, v4, v[3:4]
	v_fma_f32 v11, v46, 2.0, -v9
	v_addc_co_u32_e32 v1, vcc, v42, v1, vcc
	v_add_u32_e32 v4, 0x63, v40
	global_store_dwordx2 v[0:1], v[11:12], off
	v_lshlrev_b64 v[0:1], 3, v[19:20]
	v_mad_u64_u32 v[11:12], s[0:1], s20, v4, 0
	v_fmac_f32_e32 v6, 0x3ec3ef15, v54
	v_add_co_u32_e32 v0, vcc, v39, v0
	v_fma_f32 v8, v53, 2.0, -v6
	v_addc_co_u32_e32 v1, vcc, v42, v1, vcc
	global_store_dwordx2 v[0:1], v[7:8], off
	v_lshlrev_b64 v[0:1], 3, v[2:3]
	v_mov_b32_e32 v2, v12
	v_mad_u64_u32 v[2:3], s[0:1], s21, v4, v[2:3]
	v_add_u32_e32 v4, 0x6e, v40
	v_add_co_u32_e32 v0, vcc, v39, v0
	v_mov_b32_e32 v12, v2
	v_mad_u64_u32 v[2:3], s[0:1], s20, v4, 0
	v_addc_co_u32_e32 v1, vcc, v42, v1, vcc
	v_mad_u64_u32 v[3:4], s[0:1], s21, v4, v[3:4]
	v_add_u32_e32 v4, 0x79, v40
	global_store_dwordx2 v[0:1], v[35:36], off
	v_lshlrev_b64 v[0:1], 3, v[11:12]
	v_mad_u64_u32 v[7:8], s[0:1], s20, v4, 0
	v_add_co_u32_e32 v0, vcc, v39, v0
	v_addc_co_u32_e32 v1, vcc, v42, v1, vcc
	global_store_dwordx2 v[0:1], v[29:30], off
	v_lshlrev_b64 v[0:1], 3, v[2:3]
	v_mov_b32_e32 v2, v8
	v_mad_u64_u32 v[2:3], s[0:1], s21, v4, v[2:3]
	v_add_u32_e32 v4, 0x84, v40
	v_add_co_u32_e32 v0, vcc, v39, v0
	v_mov_b32_e32 v8, v2
	v_mad_u64_u32 v[2:3], s[0:1], s20, v4, 0
	v_addc_co_u32_e32 v1, vcc, v42, v1, vcc
	v_mad_u64_u32 v[3:4], s[0:1], s21, v4, v[3:4]
	v_add_u32_e32 v4, 0x8f, v40
	global_store_dwordx2 v[0:1], v[25:26], off
	v_lshlrev_b64 v[0:1], 3, v[7:8]
	v_mad_u64_u32 v[7:8], s[0:1], s20, v4, 0
	v_add_co_u32_e32 v0, vcc, v39, v0
	;; [unrolled: 16-line block ×3, first 2 shown]
	v_addc_co_u32_e32 v1, vcc, v42, v1, vcc
	global_store_dwordx2 v[0:1], v[13:14], off
	v_lshlrev_b64 v[0:1], 3, v[2:3]
	v_mov_b32_e32 v2, v8
	v_mad_u64_u32 v[2:3], s[0:1], s21, v4, v[2:3]
	v_add_co_u32_e32 v0, vcc, v39, v0
	v_addc_co_u32_e32 v1, vcc, v42, v1, vcc
	v_mov_b32_e32 v8, v2
	global_store_dwordx2 v[0:1], v[9:10], off
	v_lshlrev_b64 v[0:1], 3, v[7:8]
	v_add_co_u32_e32 v0, vcc, v39, v0
	v_addc_co_u32_e32 v1, vcc, v42, v1, vcc
	global_store_dwordx2 v[0:1], v[5:6], off
.LBB0_19:
	s_endpgm
	.section	.rodata,"a",@progbits
	.p2align	6, 0x0
	.amdhsa_kernel fft_rtc_fwd_len176_factors_11_16_wgs_64_tpt_16_halfLds_sp_op_CI_CI_sbrr_dirReg
		.amdhsa_group_segment_fixed_size 0
		.amdhsa_private_segment_fixed_size 0
		.amdhsa_kernarg_size 104
		.amdhsa_user_sgpr_count 6
		.amdhsa_user_sgpr_private_segment_buffer 1
		.amdhsa_user_sgpr_dispatch_ptr 0
		.amdhsa_user_sgpr_queue_ptr 0
		.amdhsa_user_sgpr_kernarg_segment_ptr 1
		.amdhsa_user_sgpr_dispatch_id 0
		.amdhsa_user_sgpr_flat_scratch_init 0
		.amdhsa_user_sgpr_private_segment_size 0
		.amdhsa_uses_dynamic_stack 0
		.amdhsa_system_sgpr_private_segment_wavefront_offset 0
		.amdhsa_system_sgpr_workgroup_id_x 1
		.amdhsa_system_sgpr_workgroup_id_y 0
		.amdhsa_system_sgpr_workgroup_id_z 0
		.amdhsa_system_sgpr_workgroup_info 0
		.amdhsa_system_vgpr_workitem_id 0
		.amdhsa_next_free_vgpr 64
		.amdhsa_next_free_sgpr 32
		.amdhsa_reserve_vcc 1
		.amdhsa_reserve_flat_scratch 0
		.amdhsa_float_round_mode_32 0
		.amdhsa_float_round_mode_16_64 0
		.amdhsa_float_denorm_mode_32 3
		.amdhsa_float_denorm_mode_16_64 3
		.amdhsa_dx10_clamp 1
		.amdhsa_ieee_mode 1
		.amdhsa_fp16_overflow 0
		.amdhsa_exception_fp_ieee_invalid_op 0
		.amdhsa_exception_fp_denorm_src 0
		.amdhsa_exception_fp_ieee_div_zero 0
		.amdhsa_exception_fp_ieee_overflow 0
		.amdhsa_exception_fp_ieee_underflow 0
		.amdhsa_exception_fp_ieee_inexact 0
		.amdhsa_exception_int_div_zero 0
	.end_amdhsa_kernel
	.text
.Lfunc_end0:
	.size	fft_rtc_fwd_len176_factors_11_16_wgs_64_tpt_16_halfLds_sp_op_CI_CI_sbrr_dirReg, .Lfunc_end0-fft_rtc_fwd_len176_factors_11_16_wgs_64_tpt_16_halfLds_sp_op_CI_CI_sbrr_dirReg
                                        ; -- End function
	.section	.AMDGPU.csdata,"",@progbits
; Kernel info:
; codeLenInByte = 6736
; NumSgprs: 36
; NumVgprs: 64
; ScratchSize: 0
; MemoryBound: 0
; FloatMode: 240
; IeeeMode: 1
; LDSByteSize: 0 bytes/workgroup (compile time only)
; SGPRBlocks: 4
; VGPRBlocks: 15
; NumSGPRsForWavesPerEU: 36
; NumVGPRsForWavesPerEU: 64
; Occupancy: 4
; WaveLimiterHint : 1
; COMPUTE_PGM_RSRC2:SCRATCH_EN: 0
; COMPUTE_PGM_RSRC2:USER_SGPR: 6
; COMPUTE_PGM_RSRC2:TRAP_HANDLER: 0
; COMPUTE_PGM_RSRC2:TGID_X_EN: 1
; COMPUTE_PGM_RSRC2:TGID_Y_EN: 0
; COMPUTE_PGM_RSRC2:TGID_Z_EN: 0
; COMPUTE_PGM_RSRC2:TIDIG_COMP_CNT: 0
	.type	__hip_cuid_ded2828a2cc8e9e1,@object ; @__hip_cuid_ded2828a2cc8e9e1
	.section	.bss,"aw",@nobits
	.globl	__hip_cuid_ded2828a2cc8e9e1
__hip_cuid_ded2828a2cc8e9e1:
	.byte	0                               ; 0x0
	.size	__hip_cuid_ded2828a2cc8e9e1, 1

	.ident	"AMD clang version 19.0.0git (https://github.com/RadeonOpenCompute/llvm-project roc-6.4.0 25133 c7fe45cf4b819c5991fe208aaa96edf142730f1d)"
	.section	".note.GNU-stack","",@progbits
	.addrsig
	.addrsig_sym __hip_cuid_ded2828a2cc8e9e1
	.amdgpu_metadata
---
amdhsa.kernels:
  - .args:
      - .actual_access:  read_only
        .address_space:  global
        .offset:         0
        .size:           8
        .value_kind:     global_buffer
      - .offset:         8
        .size:           8
        .value_kind:     by_value
      - .actual_access:  read_only
        .address_space:  global
        .offset:         16
        .size:           8
        .value_kind:     global_buffer
      - .actual_access:  read_only
        .address_space:  global
        .offset:         24
        .size:           8
        .value_kind:     global_buffer
      - .actual_access:  read_only
        .address_space:  global
        .offset:         32
        .size:           8
        .value_kind:     global_buffer
      - .offset:         40
        .size:           8
        .value_kind:     by_value
      - .actual_access:  read_only
        .address_space:  global
        .offset:         48
        .size:           8
        .value_kind:     global_buffer
      - .actual_access:  read_only
        .address_space:  global
        .offset:         56
        .size:           8
        .value_kind:     global_buffer
      - .offset:         64
        .size:           4
        .value_kind:     by_value
      - .actual_access:  read_only
        .address_space:  global
        .offset:         72
        .size:           8
        .value_kind:     global_buffer
      - .actual_access:  read_only
        .address_space:  global
        .offset:         80
        .size:           8
        .value_kind:     global_buffer
      - .actual_access:  read_only
        .address_space:  global
        .offset:         88
        .size:           8
        .value_kind:     global_buffer
      - .actual_access:  write_only
        .address_space:  global
        .offset:         96
        .size:           8
        .value_kind:     global_buffer
    .group_segment_fixed_size: 0
    .kernarg_segment_align: 8
    .kernarg_segment_size: 104
    .language:       OpenCL C
    .language_version:
      - 2
      - 0
    .max_flat_workgroup_size: 64
    .name:           fft_rtc_fwd_len176_factors_11_16_wgs_64_tpt_16_halfLds_sp_op_CI_CI_sbrr_dirReg
    .private_segment_fixed_size: 0
    .sgpr_count:     36
    .sgpr_spill_count: 0
    .symbol:         fft_rtc_fwd_len176_factors_11_16_wgs_64_tpt_16_halfLds_sp_op_CI_CI_sbrr_dirReg.kd
    .uniform_work_group_size: 1
    .uses_dynamic_stack: false
    .vgpr_count:     64
    .vgpr_spill_count: 0
    .wavefront_size: 64
amdhsa.target:   amdgcn-amd-amdhsa--gfx906
amdhsa.version:
  - 1
  - 2
...

	.end_amdgpu_metadata
